;; amdgpu-corpus repo=ParRes/Kernels kind=compiled arch=gfx906 opt=O3
	.text
	.amdgcn_target "amdgcn-amd-amdhsa--gfx906"
	.amdhsa_code_object_version 6
	.protected	_Z23transposeNoBankConflictiPdS_ ; -- Begin function _Z23transposeNoBankConflictiPdS_
	.globl	_Z23transposeNoBankConflictiPdS_
	.p2align	8
	.type	_Z23transposeNoBankConflictiPdS_,@function
_Z23transposeNoBankConflictiPdS_:       ; @_Z23transposeNoBankConflictiPdS_
; %bb.0:
	s_load_dword s8, s[4:5], 0x18
	s_load_dwordx4 s[0:3], s[4:5], 0x8
	s_lshl_b32 s7, s7, 6
	v_add_u32_e32 v2, s7, v1
	s_lshl_b32 s5, s6, 6
	s_waitcnt lgkmcnt(0)
	s_lshl_b32 s9, s8, 6
	v_mul_lo_u32 v2, v2, s9
	v_mov_b32_e32 v3, 0
	v_mov_b32_e32 v7, s1
	s_lshl_b32 s4, s8, 9
	v_add3_u32 v2, s5, v0, v2
	v_lshlrev_b64 v[4:5], 3, v[2:3]
	v_add_u32_e32 v2, s4, v2
	v_add_co_u32_e32 v6, vcc, s0, v4
	v_addc_co_u32_e32 v7, vcc, v7, v5, vcc
	global_load_dwordx2 v[4:5], v[6:7], off
	v_lshlrev_b64 v[10:11], 3, v[2:3]
	v_mov_b32_e32 v12, s1
	v_add_co_u32_e32 v10, vcc, s0, v10
	v_addc_co_u32_e32 v11, vcc, v12, v11, vcc
	v_add_u32_e32 v2, s4, v2
	v_lshlrev_b64 v[12:13], 3, v[2:3]
	v_mov_b32_e32 v14, s1
	v_add_co_u32_e32 v12, vcc, s0, v12
	v_addc_co_u32_e32 v13, vcc, v14, v13, vcc
	v_add_u32_e32 v2, s4, v2
	;; [unrolled: 5-line block ×6, first 2 shown]
	v_lshlrev_b64 v[22:23], 3, v[2:3]
	v_mov_b32_e32 v24, s1
	v_add_co_u32_e32 v22, vcc, s0, v22
	v_addc_co_u32_e32 v23, vcc, v24, v23, vcc
	s_movk_i32 s0, 0x208
	v_add_u32_e32 v2, s5, v1
	v_mul_lo_u32 v2, v2, s9
	v_mov_b32_e32 v25, s3
	v_add3_u32 v2, s7, v0, v2
	s_waitcnt vmcnt(0)
	v_add_f64 v[8:9], v[4:5], 1.0
	global_store_dwordx2 v[6:7], v[8:9], off
	global_load_dwordx2 v[6:7], v[10:11], off
	s_waitcnt vmcnt(0)
	v_add_f64 v[8:9], v[6:7], 1.0
	global_store_dwordx2 v[10:11], v[8:9], off
	global_load_dwordx2 v[8:9], v[12:13], off
	;; [unrolled: 4-line block ×7, first 2 shown]
	v_lshlrev_b32_e32 v20, 3, v0
	v_mad_u32_u24 v24, v1, s0, v20
	ds_write_b64 v24, v[4:5]
	v_lshlrev_b64 v[20:21], 3, v[2:3]
	v_lshlrev_b32_e32 v1, 3, v1
	v_add_co_u32_e32 v20, vcc, s2, v20
	v_addc_co_u32_e32 v21, vcc, v25, v21, vcc
	v_add_u32_e32 v2, s4, v2
	ds_write_b64 v24, v[6:7] offset:4160
	ds_write_b64 v24, v[8:9] offset:8320
	;; [unrolled: 1-line block ×6, first 2 shown]
	s_waitcnt vmcnt(0)
	ds_write_b64 v24, v[18:19] offset:29120
	v_mad_u32_u24 v10, v0, s0, v1
	v_mov_b32_e32 v11, s3
	v_add_f64 v[4:5], v[18:19], 1.0
	global_store_dwordx2 v[22:23], v[4:5], off
	s_waitcnt vmcnt(0) lgkmcnt(0)
	s_barrier
	global_load_dwordx2 v[8:9], v[20:21], off
	ds_read2_b64 v[4:7], v10 offset1:8
	s_waitcnt vmcnt(0) lgkmcnt(0)
	v_add_f64 v[0:1], v[4:5], v[8:9]
	v_lshlrev_b64 v[4:5], 3, v[2:3]
	v_mov_b32_e32 v8, s3
	v_add_co_u32_e32 v4, vcc, s2, v4
	v_addc_co_u32_e32 v5, vcc, v8, v5, vcc
	v_add_u32_e32 v2, s4, v2
	global_store_dwordx2 v[20:21], v[0:1], off
	global_load_dwordx2 v[0:1], v[4:5], off
	v_mov_b32_e32 v9, s3
	s_waitcnt vmcnt(0)
	v_add_f64 v[0:1], v[6:7], v[0:1]
	v_lshlrev_b64 v[6:7], 3, v[2:3]
	v_add_u32_e32 v2, s4, v2
	v_add_co_u32_e32 v8, vcc, s2, v6
	v_addc_co_u32_e32 v9, vcc, v9, v7, vcc
	global_store_dwordx2 v[4:5], v[0:1], off
	global_load_dwordx2 v[0:1], v[8:9], off
	ds_read2_b64 v[4:7], v10 offset0:16 offset1:24
	s_waitcnt vmcnt(0) lgkmcnt(0)
	v_add_f64 v[0:1], v[4:5], v[0:1]
	v_lshlrev_b64 v[4:5], 3, v[2:3]
	v_add_u32_e32 v2, s4, v2
	v_add_co_u32_e32 v4, vcc, s2, v4
	v_addc_co_u32_e32 v5, vcc, v11, v5, vcc
	global_store_dwordx2 v[8:9], v[0:1], off
	global_load_dwordx2 v[0:1], v[4:5], off
	v_mov_b32_e32 v9, s3
	s_waitcnt vmcnt(0)
	v_add_f64 v[0:1], v[6:7], v[0:1]
	v_lshlrev_b64 v[6:7], 3, v[2:3]
	v_add_u32_e32 v2, s4, v2
	v_add_co_u32_e32 v8, vcc, s2, v6
	v_addc_co_u32_e32 v9, vcc, v9, v7, vcc
	global_store_dwordx2 v[4:5], v[0:1], off
	global_load_dwordx2 v[0:1], v[8:9], off
	ds_read2_b64 v[4:7], v10 offset0:32 offset1:40
	s_waitcnt vmcnt(0) lgkmcnt(0)
	v_add_f64 v[0:1], v[4:5], v[0:1]
	v_lshlrev_b64 v[4:5], 3, v[2:3]
	v_add_u32_e32 v2, s4, v2
	v_add_co_u32_e32 v4, vcc, s2, v4
	v_addc_co_u32_e32 v5, vcc, v11, v5, vcc
	global_store_dwordx2 v[8:9], v[0:1], off
	global_load_dwordx2 v[0:1], v[4:5], off
	v_mov_b32_e32 v9, s3
	s_waitcnt vmcnt(0)
	v_add_f64 v[0:1], v[6:7], v[0:1]
	v_lshlrev_b64 v[6:7], 3, v[2:3]
	v_add_u32_e32 v2, s4, v2
	v_add_co_u32_e32 v8, vcc, s2, v6
	v_addc_co_u32_e32 v9, vcc, v9, v7, vcc
	v_lshlrev_b64 v[2:3], 3, v[2:3]
	global_store_dwordx2 v[4:5], v[0:1], off
	global_load_dwordx2 v[0:1], v[8:9], off
	ds_read2_b64 v[4:7], v10 offset0:48 offset1:56
	s_waitcnt vmcnt(0) lgkmcnt(0)
	v_add_f64 v[0:1], v[4:5], v[0:1]
	v_mov_b32_e32 v4, s3
	global_store_dwordx2 v[8:9], v[0:1], off
	v_add_co_u32_e32 v0, vcc, s2, v2
	v_addc_co_u32_e32 v1, vcc, v4, v3, vcc
	global_load_dwordx2 v[2:3], v[0:1], off
	s_waitcnt vmcnt(0)
	v_add_f64 v[2:3], v[6:7], v[2:3]
	global_store_dwordx2 v[0:1], v[2:3], off
	s_endpgm
	.section	.rodata,"a",@progbits
	.p2align	6, 0x0
	.amdhsa_kernel _Z23transposeNoBankConflictiPdS_
		.amdhsa_group_segment_fixed_size 33280
		.amdhsa_private_segment_fixed_size 0
		.amdhsa_kernarg_size 280
		.amdhsa_user_sgpr_count 6
		.amdhsa_user_sgpr_private_segment_buffer 1
		.amdhsa_user_sgpr_dispatch_ptr 0
		.amdhsa_user_sgpr_queue_ptr 0
		.amdhsa_user_sgpr_kernarg_segment_ptr 1
		.amdhsa_user_sgpr_dispatch_id 0
		.amdhsa_user_sgpr_flat_scratch_init 0
		.amdhsa_user_sgpr_private_segment_size 0
		.amdhsa_uses_dynamic_stack 0
		.amdhsa_system_sgpr_private_segment_wavefront_offset 0
		.amdhsa_system_sgpr_workgroup_id_x 1
		.amdhsa_system_sgpr_workgroup_id_y 1
		.amdhsa_system_sgpr_workgroup_id_z 0
		.amdhsa_system_sgpr_workgroup_info 0
		.amdhsa_system_vgpr_workitem_id 1
		.amdhsa_next_free_vgpr 26
		.amdhsa_next_free_sgpr 10
		.amdhsa_reserve_vcc 1
		.amdhsa_reserve_flat_scratch 0
		.amdhsa_float_round_mode_32 0
		.amdhsa_float_round_mode_16_64 0
		.amdhsa_float_denorm_mode_32 3
		.amdhsa_float_denorm_mode_16_64 3
		.amdhsa_dx10_clamp 1
		.amdhsa_ieee_mode 1
		.amdhsa_fp16_overflow 0
		.amdhsa_exception_fp_ieee_invalid_op 0
		.amdhsa_exception_fp_denorm_src 0
		.amdhsa_exception_fp_ieee_div_zero 0
		.amdhsa_exception_fp_ieee_overflow 0
		.amdhsa_exception_fp_ieee_underflow 0
		.amdhsa_exception_fp_ieee_inexact 0
		.amdhsa_exception_int_div_zero 0
	.end_amdhsa_kernel
	.text
.Lfunc_end0:
	.size	_Z23transposeNoBankConflictiPdS_, .Lfunc_end0-_Z23transposeNoBankConflictiPdS_
                                        ; -- End function
	.section	.AMDGPU.csdata,"",@progbits
; Kernel info:
; codeLenInByte = 1036
; NumSgprs: 14
; NumVgprs: 26
; ScratchSize: 0
; MemoryBound: 1
; FloatMode: 240
; IeeeMode: 1
; LDSByteSize: 33280 bytes/workgroup (compile time only)
; SGPRBlocks: 1
; VGPRBlocks: 6
; NumSGPRsForWavesPerEU: 14
; NumVGPRsForWavesPerEU: 26
; Occupancy: 4
; WaveLimiterHint : 1
; COMPUTE_PGM_RSRC2:SCRATCH_EN: 0
; COMPUTE_PGM_RSRC2:USER_SGPR: 6
; COMPUTE_PGM_RSRC2:TRAP_HANDLER: 0
; COMPUTE_PGM_RSRC2:TGID_X_EN: 1
; COMPUTE_PGM_RSRC2:TGID_Y_EN: 1
; COMPUTE_PGM_RSRC2:TGID_Z_EN: 0
; COMPUTE_PGM_RSRC2:TIDIG_COMP_CNT: 1
	.text
	.protected	_Z18transposeCoalescediPdS_ ; -- Begin function _Z18transposeCoalescediPdS_
	.globl	_Z18transposeCoalescediPdS_
	.p2align	8
	.type	_Z18transposeCoalescediPdS_,@function
_Z18transposeCoalescediPdS_:            ; @_Z18transposeCoalescediPdS_
; %bb.0:
	s_load_dword s8, s[4:5], 0x18
	s_load_dwordx4 s[0:3], s[4:5], 0x8
	s_lshl_b32 s7, s7, 6
	v_add_u32_e32 v2, s7, v1
	s_lshl_b32 s5, s6, 6
	s_waitcnt lgkmcnt(0)
	s_lshl_b32 s9, s8, 6
	v_mul_lo_u32 v2, v2, s9
	v_mov_b32_e32 v3, 0
	v_mov_b32_e32 v7, s1
	s_lshl_b32 s4, s8, 9
	v_add3_u32 v2, s5, v0, v2
	v_lshlrev_b64 v[4:5], 3, v[2:3]
	v_add_u32_e32 v2, s4, v2
	v_add_co_u32_e32 v6, vcc, s0, v4
	v_addc_co_u32_e32 v7, vcc, v7, v5, vcc
	global_load_dwordx2 v[4:5], v[6:7], off
	v_lshlrev_b64 v[10:11], 3, v[2:3]
	v_mov_b32_e32 v12, s1
	v_add_co_u32_e32 v10, vcc, s0, v10
	v_addc_co_u32_e32 v11, vcc, v12, v11, vcc
	v_add_u32_e32 v2, s4, v2
	v_lshlrev_b64 v[12:13], 3, v[2:3]
	v_mov_b32_e32 v14, s1
	v_add_co_u32_e32 v12, vcc, s0, v12
	v_addc_co_u32_e32 v13, vcc, v14, v13, vcc
	v_add_u32_e32 v2, s4, v2
	;; [unrolled: 5-line block ×7, first 2 shown]
	v_mul_lo_u32 v2, v2, s9
	v_mov_b32_e32 v24, s3
	v_lshlrev_b32_e32 v26, 3, v0
	v_lshl_add_u32 v26, v1, 9, v26
	v_add3_u32 v2, s7, v0, v2
	v_lshlrev_b32_e32 v1, 3, v1
	s_waitcnt vmcnt(0)
	v_add_f64 v[8:9], v[4:5], 1.0
	global_store_dwordx2 v[6:7], v[8:9], off
	global_load_dwordx2 v[6:7], v[10:11], off
	s_waitcnt vmcnt(0)
	v_add_f64 v[8:9], v[6:7], 1.0
	global_store_dwordx2 v[10:11], v[8:9], off
	global_load_dwordx2 v[8:9], v[12:13], off
	s_waitcnt vmcnt(0)
	v_add_f64 v[10:11], v[8:9], 1.0
	global_store_dwordx2 v[12:13], v[10:11], off
	global_load_dwordx2 v[10:11], v[14:15], off
	s_waitcnt vmcnt(0)
	v_add_f64 v[12:13], v[10:11], 1.0
	global_store_dwordx2 v[14:15], v[12:13], off
	global_load_dwordx2 v[12:13], v[16:17], off
	s_waitcnt vmcnt(0)
	v_add_f64 v[14:15], v[12:13], 1.0
	global_store_dwordx2 v[16:17], v[14:15], off
	global_load_dwordx2 v[14:15], v[18:19], off
	s_waitcnt vmcnt(0)
	v_add_f64 v[16:17], v[14:15], 1.0
	global_store_dwordx2 v[18:19], v[16:17], off
	global_load_dwordx2 v[16:17], v[20:21], off
	s_waitcnt vmcnt(0)
	v_add_f64 v[18:19], v[16:17], 1.0
	global_store_dwordx2 v[20:21], v[18:19], off
	global_load_dwordx2 v[18:19], v[22:23], off
	v_lshlrev_b64 v[20:21], 3, v[2:3]
	v_add_u32_e32 v2, s4, v2
	v_add_co_u32_e32 v20, vcc, s2, v20
	v_addc_co_u32_e32 v21, vcc, v24, v21, vcc
	ds_write2st64_b64 v26, v[4:5], v[6:7] offset1:8
	ds_write2st64_b64 v26, v[8:9], v[10:11] offset0:16 offset1:24
	ds_write2st64_b64 v26, v[12:13], v[14:15] offset0:32 offset1:40
	s_waitcnt vmcnt(0)
	ds_write2st64_b64 v26, v[16:17], v[18:19] offset0:48 offset1:56
	v_lshl_add_u32 v10, v0, 9, v1
	v_mov_b32_e32 v11, s3
	v_add_f64 v[24:25], v[18:19], 1.0
	global_store_dwordx2 v[22:23], v[24:25], off
	s_waitcnt vmcnt(0) lgkmcnt(0)
	s_barrier
	global_load_dwordx2 v[8:9], v[20:21], off
	ds_read2_b64 v[4:7], v10 offset1:8
	s_waitcnt vmcnt(0) lgkmcnt(0)
	v_add_f64 v[0:1], v[4:5], v[8:9]
	v_lshlrev_b64 v[4:5], 3, v[2:3]
	v_mov_b32_e32 v8, s3
	v_add_co_u32_e32 v4, vcc, s2, v4
	v_addc_co_u32_e32 v5, vcc, v8, v5, vcc
	v_add_u32_e32 v2, s4, v2
	global_store_dwordx2 v[20:21], v[0:1], off
	global_load_dwordx2 v[0:1], v[4:5], off
	v_mov_b32_e32 v9, s3
	s_waitcnt vmcnt(0)
	v_add_f64 v[0:1], v[6:7], v[0:1]
	v_lshlrev_b64 v[6:7], 3, v[2:3]
	v_add_u32_e32 v2, s4, v2
	v_add_co_u32_e32 v8, vcc, s2, v6
	v_addc_co_u32_e32 v9, vcc, v9, v7, vcc
	global_store_dwordx2 v[4:5], v[0:1], off
	global_load_dwordx2 v[0:1], v[8:9], off
	ds_read2_b64 v[4:7], v10 offset0:16 offset1:24
	s_waitcnt vmcnt(0) lgkmcnt(0)
	v_add_f64 v[0:1], v[4:5], v[0:1]
	v_lshlrev_b64 v[4:5], 3, v[2:3]
	v_add_u32_e32 v2, s4, v2
	v_add_co_u32_e32 v4, vcc, s2, v4
	v_addc_co_u32_e32 v5, vcc, v11, v5, vcc
	global_store_dwordx2 v[8:9], v[0:1], off
	global_load_dwordx2 v[0:1], v[4:5], off
	v_mov_b32_e32 v9, s3
	s_waitcnt vmcnt(0)
	v_add_f64 v[0:1], v[6:7], v[0:1]
	v_lshlrev_b64 v[6:7], 3, v[2:3]
	v_add_u32_e32 v2, s4, v2
	v_add_co_u32_e32 v8, vcc, s2, v6
	v_addc_co_u32_e32 v9, vcc, v9, v7, vcc
	global_store_dwordx2 v[4:5], v[0:1], off
	global_load_dwordx2 v[0:1], v[8:9], off
	ds_read2_b64 v[4:7], v10 offset0:32 offset1:40
	s_waitcnt vmcnt(0) lgkmcnt(0)
	v_add_f64 v[0:1], v[4:5], v[0:1]
	v_lshlrev_b64 v[4:5], 3, v[2:3]
	v_add_u32_e32 v2, s4, v2
	v_add_co_u32_e32 v4, vcc, s2, v4
	v_addc_co_u32_e32 v5, vcc, v11, v5, vcc
	global_store_dwordx2 v[8:9], v[0:1], off
	global_load_dwordx2 v[0:1], v[4:5], off
	v_mov_b32_e32 v9, s3
	s_waitcnt vmcnt(0)
	v_add_f64 v[0:1], v[6:7], v[0:1]
	v_lshlrev_b64 v[6:7], 3, v[2:3]
	v_add_u32_e32 v2, s4, v2
	v_add_co_u32_e32 v8, vcc, s2, v6
	v_addc_co_u32_e32 v9, vcc, v9, v7, vcc
	v_lshlrev_b64 v[2:3], 3, v[2:3]
	global_store_dwordx2 v[4:5], v[0:1], off
	global_load_dwordx2 v[0:1], v[8:9], off
	ds_read2_b64 v[4:7], v10 offset0:48 offset1:56
	s_waitcnt vmcnt(0) lgkmcnt(0)
	v_add_f64 v[0:1], v[4:5], v[0:1]
	v_mov_b32_e32 v4, s3
	global_store_dwordx2 v[8:9], v[0:1], off
	v_add_co_u32_e32 v0, vcc, s2, v2
	v_addc_co_u32_e32 v1, vcc, v4, v3, vcc
	global_load_dwordx2 v[2:3], v[0:1], off
	s_waitcnt vmcnt(0)
	v_add_f64 v[2:3], v[6:7], v[2:3]
	global_store_dwordx2 v[0:1], v[2:3], off
	s_endpgm
	.section	.rodata,"a",@progbits
	.p2align	6, 0x0
	.amdhsa_kernel _Z18transposeCoalescediPdS_
		.amdhsa_group_segment_fixed_size 32768
		.amdhsa_private_segment_fixed_size 0
		.amdhsa_kernarg_size 280
		.amdhsa_user_sgpr_count 6
		.amdhsa_user_sgpr_private_segment_buffer 1
		.amdhsa_user_sgpr_dispatch_ptr 0
		.amdhsa_user_sgpr_queue_ptr 0
		.amdhsa_user_sgpr_kernarg_segment_ptr 1
		.amdhsa_user_sgpr_dispatch_id 0
		.amdhsa_user_sgpr_flat_scratch_init 0
		.amdhsa_user_sgpr_private_segment_size 0
		.amdhsa_uses_dynamic_stack 0
		.amdhsa_system_sgpr_private_segment_wavefront_offset 0
		.amdhsa_system_sgpr_workgroup_id_x 1
		.amdhsa_system_sgpr_workgroup_id_y 1
		.amdhsa_system_sgpr_workgroup_id_z 0
		.amdhsa_system_sgpr_workgroup_info 0
		.amdhsa_system_vgpr_workitem_id 1
		.amdhsa_next_free_vgpr 27
		.amdhsa_next_free_sgpr 10
		.amdhsa_reserve_vcc 1
		.amdhsa_reserve_flat_scratch 0
		.amdhsa_float_round_mode_32 0
		.amdhsa_float_round_mode_16_64 0
		.amdhsa_float_denorm_mode_32 3
		.amdhsa_float_denorm_mode_16_64 3
		.amdhsa_dx10_clamp 1
		.amdhsa_ieee_mode 1
		.amdhsa_fp16_overflow 0
		.amdhsa_exception_fp_ieee_invalid_op 0
		.amdhsa_exception_fp_denorm_src 0
		.amdhsa_exception_fp_ieee_div_zero 0
		.amdhsa_exception_fp_ieee_overflow 0
		.amdhsa_exception_fp_ieee_underflow 0
		.amdhsa_exception_fp_ieee_inexact 0
		.amdhsa_exception_int_div_zero 0
	.end_amdhsa_kernel
	.text
.Lfunc_end1:
	.size	_Z18transposeCoalescediPdS_, .Lfunc_end1-_Z18transposeCoalescediPdS_
                                        ; -- End function
	.section	.AMDGPU.csdata,"",@progbits
; Kernel info:
; codeLenInByte = 1000
; NumSgprs: 14
; NumVgprs: 27
; ScratchSize: 0
; MemoryBound: 1
; FloatMode: 240
; IeeeMode: 1
; LDSByteSize: 32768 bytes/workgroup (compile time only)
; SGPRBlocks: 1
; VGPRBlocks: 6
; NumSGPRsForWavesPerEU: 14
; NumVGPRsForWavesPerEU: 27
; Occupancy: 8
; WaveLimiterHint : 1
; COMPUTE_PGM_RSRC2:SCRATCH_EN: 0
; COMPUTE_PGM_RSRC2:USER_SGPR: 6
; COMPUTE_PGM_RSRC2:TRAP_HANDLER: 0
; COMPUTE_PGM_RSRC2:TGID_X_EN: 1
; COMPUTE_PGM_RSRC2:TGID_Y_EN: 1
; COMPUTE_PGM_RSRC2:TGID_Z_EN: 0
; COMPUTE_PGM_RSRC2:TIDIG_COMP_CNT: 1
	.text
	.protected	_Z14transposeNaiveiPdS_ ; -- Begin function _Z14transposeNaiveiPdS_
	.globl	_Z14transposeNaiveiPdS_
	.p2align	8
	.type	_Z14transposeNaiveiPdS_,@function
_Z14transposeNaiveiPdS_:                ; @_Z14transposeNaiveiPdS_
; %bb.0:
	s_load_dword s8, s[4:5], 0x18
	s_load_dwordx4 s[0:3], s[4:5], 0x8
	v_lshl_add_u32 v2, s6, 6, v0
	v_lshl_add_u32 v3, s7, 6, v1
	s_waitcnt lgkmcnt(0)
	s_lshl_b32 s6, s8, 6
	v_mad_u64_u32 v[0:1], s[4:5], v3, s6, v[2:3]
	v_mov_b32_e32 v1, 0
	v_mov_b32_e32 v6, s1
	v_lshlrev_b64 v[4:5], 3, v[0:1]
	v_mov_b32_e32 v12, s3
	v_mad_u64_u32 v[2:3], s[4:5], s6, v2, v[3:4]
	v_mov_b32_e32 v3, v1
	v_add_co_u32_e32 v4, vcc, s0, v4
	v_lshlrev_b64 v[8:9], 3, v[2:3]
	v_addc_co_u32_e32 v5, vcc, v6, v5, vcc
	v_mov_b32_e32 v3, s3
	v_add_co_u32_e32 v8, vcc, s2, v8
	v_addc_co_u32_e32 v9, vcc, v3, v9, vcc
	global_load_dwordx2 v[6:7], v[4:5], off
	global_load_dwordx2 v[10:11], v[8:9], off
	s_lshl_b32 s4, s8, 9
	v_add_u32_e32 v0, s4, v0
	v_mov_b32_e32 v3, s1
	s_waitcnt vmcnt(0)
	v_add_f64 v[6:7], v[6:7], v[10:11]
	v_lshlrev_b64 v[10:11], 3, v[0:1]
	v_add_u32_e32 v0, s4, v0
	v_add_co_u32_e32 v10, vcc, s0, v10
	v_addc_co_u32_e32 v11, vcc, v3, v11, vcc
	global_store_dwordx2 v[8:9], v[6:7], off
	global_load_dwordx2 v[6:7], v[4:5], off
	v_mov_b32_e32 v9, v1
	v_add_u32_e32 v8, 8, v2
	v_lshlrev_b64 v[8:9], 3, v[8:9]
	v_add_co_u32_e32 v8, vcc, s2, v8
	v_addc_co_u32_e32 v9, vcc, v12, v9, vcc
	s_waitcnt vmcnt(0)
	v_add_f64 v[6:7], v[6:7], 1.0
	global_store_dwordx2 v[4:5], v[6:7], off
	global_load_dwordx2 v[3:4], v[10:11], off
	s_nop 0
	global_load_dwordx2 v[5:6], v[8:9], off
	s_waitcnt vmcnt(0)
	v_add_f64 v[3:4], v[3:4], v[5:6]
	v_mov_b32_e32 v6, v1
	v_add_u32_e32 v5, 16, v2
	v_lshlrev_b64 v[5:6], 3, v[5:6]
	v_add_co_u32_e32 v5, vcc, s2, v5
	v_addc_co_u32_e32 v6, vcc, v12, v6, vcc
	global_store_dwordx2 v[8:9], v[3:4], off
	global_load_dwordx2 v[3:4], v[10:11], off
	v_lshlrev_b64 v[7:8], 3, v[0:1]
	v_mov_b32_e32 v9, s1
	v_add_co_u32_e32 v7, vcc, s0, v7
	v_addc_co_u32_e32 v8, vcc, v9, v8, vcc
	v_add_u32_e32 v0, s4, v0
	s_waitcnt vmcnt(0)
	v_add_f64 v[3:4], v[3:4], 1.0
	global_store_dwordx2 v[10:11], v[3:4], off
	global_load_dwordx2 v[3:4], v[7:8], off
	s_nop 0
	global_load_dwordx2 v[9:10], v[5:6], off
	v_mov_b32_e32 v11, s1
	s_waitcnt vmcnt(0)
	v_add_f64 v[3:4], v[3:4], v[9:10]
	v_lshlrev_b64 v[9:10], 3, v[0:1]
	v_add_u32_e32 v0, s4, v0
	global_store_dwordx2 v[5:6], v[3:4], off
	global_load_dwordx2 v[3:4], v[7:8], off
	v_mov_b32_e32 v6, v1
	v_add_u32_e32 v5, 24, v2
	v_lshlrev_b64 v[5:6], 3, v[5:6]
	v_add_co_u32_e32 v5, vcc, s2, v5
	v_addc_co_u32_e32 v6, vcc, v12, v6, vcc
	v_add_co_u32_e32 v9, vcc, s0, v9
	v_addc_co_u32_e32 v10, vcc, v11, v10, vcc
	s_waitcnt vmcnt(0)
	v_add_f64 v[3:4], v[3:4], 1.0
	global_store_dwordx2 v[7:8], v[3:4], off
	global_load_dwordx2 v[3:4], v[9:10], off
	s_nop 0
	global_load_dwordx2 v[7:8], v[5:6], off
	s_waitcnt vmcnt(0)
	v_add_f64 v[3:4], v[3:4], v[7:8]
	v_mov_b32_e32 v7, s3
	global_store_dwordx2 v[5:6], v[3:4], off
	global_load_dwordx2 v[3:4], v[9:10], off
	v_mov_b32_e32 v6, v1
	v_add_u32_e32 v5, 32, v2
	v_lshlrev_b64 v[5:6], 3, v[5:6]
	v_add_co_u32_e32 v5, vcc, s2, v5
	v_addc_co_u32_e32 v6, vcc, v7, v6, vcc
	v_lshlrev_b64 v[7:8], 3, v[0:1]
	v_add_u32_e32 v0, s4, v0
	v_add_co_u32_e32 v7, vcc, s0, v7
	v_addc_co_u32_e32 v8, vcc, v11, v8, vcc
	s_waitcnt vmcnt(0)
	v_add_f64 v[3:4], v[3:4], 1.0
	global_store_dwordx2 v[9:10], v[3:4], off
	global_load_dwordx2 v[3:4], v[7:8], off
	s_nop 0
	global_load_dwordx2 v[9:10], v[5:6], off
	s_waitcnt vmcnt(0)
	v_add_f64 v[3:4], v[3:4], v[9:10]
	v_mov_b32_e32 v9, s3
	global_store_dwordx2 v[5:6], v[3:4], off
	global_load_dwordx2 v[3:4], v[7:8], off
	v_mov_b32_e32 v6, v1
	v_add_u32_e32 v5, 40, v2
	v_lshlrev_b64 v[5:6], 3, v[5:6]
	v_add_co_u32_e32 v5, vcc, s2, v5
	v_addc_co_u32_e32 v6, vcc, v9, v6, vcc
	v_lshlrev_b64 v[9:10], 3, v[0:1]
	v_add_u32_e32 v0, s4, v0
	v_add_co_u32_e32 v9, vcc, s0, v9
	v_addc_co_u32_e32 v10, vcc, v11, v10, vcc
	s_waitcnt vmcnt(0)
	v_add_f64 v[3:4], v[3:4], 1.0
	global_store_dwordx2 v[7:8], v[3:4], off
	global_load_dwordx2 v[3:4], v[9:10], off
	s_nop 0
	global_load_dwordx2 v[7:8], v[5:6], off
	s_waitcnt vmcnt(0)
	v_add_f64 v[3:4], v[3:4], v[7:8]
	v_mov_b32_e32 v7, s3
	global_store_dwordx2 v[5:6], v[3:4], off
	global_load_dwordx2 v[3:4], v[9:10], off
	v_mov_b32_e32 v6, v1
	v_add_u32_e32 v5, 48, v2
	v_lshlrev_b64 v[5:6], 3, v[5:6]
	v_add_co_u32_e32 v5, vcc, s2, v5
	v_addc_co_u32_e32 v6, vcc, v7, v6, vcc
	v_lshlrev_b64 v[7:8], 3, v[0:1]
	v_add_u32_e32 v0, s4, v0
	v_add_co_u32_e32 v7, vcc, s0, v7
	v_addc_co_u32_e32 v8, vcc, v11, v8, vcc
	s_waitcnt vmcnt(0)
	v_add_f64 v[3:4], v[3:4], 1.0
	global_store_dwordx2 v[9:10], v[3:4], off
	global_load_dwordx2 v[3:4], v[7:8], off
	s_nop 0
	global_load_dwordx2 v[9:10], v[5:6], off
	s_waitcnt vmcnt(0)
	v_add_f64 v[3:4], v[3:4], v[9:10]
	v_mov_b32_e32 v9, s1
	v_mov_b32_e32 v10, s3
	global_store_dwordx2 v[5:6], v[3:4], off
	global_load_dwordx2 v[3:4], v[7:8], off
	v_lshlrev_b64 v[5:6], 3, v[0:1]
	v_add_u32_e32 v0, 56, v2
	v_lshlrev_b64 v[0:1], 3, v[0:1]
	s_waitcnt vmcnt(0)
	v_add_f64 v[2:3], v[3:4], 1.0
	v_add_co_u32_e32 v4, vcc, s0, v5
	v_addc_co_u32_e32 v5, vcc, v9, v6, vcc
	v_add_co_u32_e32 v0, vcc, s2, v0
	v_addc_co_u32_e32 v1, vcc, v10, v1, vcc
	global_store_dwordx2 v[7:8], v[2:3], off
	global_load_dwordx2 v[2:3], v[4:5], off
	s_nop 0
	global_load_dwordx2 v[6:7], v[0:1], off
	s_waitcnt vmcnt(0)
	v_add_f64 v[2:3], v[2:3], v[6:7]
	global_store_dwordx2 v[0:1], v[2:3], off
	global_load_dwordx2 v[0:1], v[4:5], off
	s_waitcnt vmcnt(0)
	v_add_f64 v[0:1], v[0:1], 1.0
	global_store_dwordx2 v[4:5], v[0:1], off
	s_endpgm
	.section	.rodata,"a",@progbits
	.p2align	6, 0x0
	.amdhsa_kernel _Z14transposeNaiveiPdS_
		.amdhsa_group_segment_fixed_size 0
		.amdhsa_private_segment_fixed_size 0
		.amdhsa_kernarg_size 280
		.amdhsa_user_sgpr_count 6
		.amdhsa_user_sgpr_private_segment_buffer 1
		.amdhsa_user_sgpr_dispatch_ptr 0
		.amdhsa_user_sgpr_queue_ptr 0
		.amdhsa_user_sgpr_kernarg_segment_ptr 1
		.amdhsa_user_sgpr_dispatch_id 0
		.amdhsa_user_sgpr_flat_scratch_init 0
		.amdhsa_user_sgpr_private_segment_size 0
		.amdhsa_uses_dynamic_stack 0
		.amdhsa_system_sgpr_private_segment_wavefront_offset 0
		.amdhsa_system_sgpr_workgroup_id_x 1
		.amdhsa_system_sgpr_workgroup_id_y 1
		.amdhsa_system_sgpr_workgroup_id_z 0
		.amdhsa_system_sgpr_workgroup_info 0
		.amdhsa_system_vgpr_workitem_id 1
		.amdhsa_next_free_vgpr 13
		.amdhsa_next_free_sgpr 9
		.amdhsa_reserve_vcc 1
		.amdhsa_reserve_flat_scratch 0
		.amdhsa_float_round_mode_32 0
		.amdhsa_float_round_mode_16_64 0
		.amdhsa_float_denorm_mode_32 3
		.amdhsa_float_denorm_mode_16_64 3
		.amdhsa_dx10_clamp 1
		.amdhsa_ieee_mode 1
		.amdhsa_fp16_overflow 0
		.amdhsa_exception_fp_ieee_invalid_op 0
		.amdhsa_exception_fp_denorm_src 0
		.amdhsa_exception_fp_ieee_div_zero 0
		.amdhsa_exception_fp_ieee_overflow 0
		.amdhsa_exception_fp_ieee_underflow 0
		.amdhsa_exception_fp_ieee_inexact 0
		.amdhsa_exception_int_div_zero 0
	.end_amdhsa_kernel
	.text
.Lfunc_end2:
	.size	_Z14transposeNaiveiPdS_, .Lfunc_end2-_Z14transposeNaiveiPdS_
                                        ; -- End function
	.section	.AMDGPU.csdata,"",@progbits
; Kernel info:
; codeLenInByte = 992
; NumSgprs: 13
; NumVgprs: 13
; ScratchSize: 0
; MemoryBound: 1
; FloatMode: 240
; IeeeMode: 1
; LDSByteSize: 0 bytes/workgroup (compile time only)
; SGPRBlocks: 1
; VGPRBlocks: 3
; NumSGPRsForWavesPerEU: 13
; NumVGPRsForWavesPerEU: 13
; Occupancy: 8
; WaveLimiterHint : 1
; COMPUTE_PGM_RSRC2:SCRATCH_EN: 0
; COMPUTE_PGM_RSRC2:USER_SGPR: 6
; COMPUTE_PGM_RSRC2:TRAP_HANDLER: 0
; COMPUTE_PGM_RSRC2:TGID_X_EN: 1
; COMPUTE_PGM_RSRC2:TGID_Y_EN: 1
; COMPUTE_PGM_RSRC2:TGID_Z_EN: 0
; COMPUTE_PGM_RSRC2:TIDIG_COMP_CNT: 1
	.type	__hip_cuid_a89c8dc37a8cf98d,@object ; @__hip_cuid_a89c8dc37a8cf98d
	.section	.bss,"aw",@nobits
	.globl	__hip_cuid_a89c8dc37a8cf98d
__hip_cuid_a89c8dc37a8cf98d:
	.byte	0                               ; 0x0
	.size	__hip_cuid_a89c8dc37a8cf98d, 1

	.ident	"AMD clang version 19.0.0git (https://github.com/RadeonOpenCompute/llvm-project roc-6.4.0 25133 c7fe45cf4b819c5991fe208aaa96edf142730f1d)"
	.section	".note.GNU-stack","",@progbits
	.addrsig
	.addrsig_sym __hip_cuid_a89c8dc37a8cf98d
	.amdgpu_metadata
---
amdhsa.kernels:
  - .args:
      - .offset:         0
        .size:           4
        .value_kind:     by_value
      - .address_space:  global
        .offset:         8
        .size:           8
        .value_kind:     global_buffer
      - .address_space:  global
        .offset:         16
        .size:           8
        .value_kind:     global_buffer
      - .offset:         24
        .size:           4
        .value_kind:     hidden_block_count_x
      - .offset:         28
        .size:           4
        .value_kind:     hidden_block_count_y
      - .offset:         32
        .size:           4
        .value_kind:     hidden_block_count_z
      - .offset:         36
        .size:           2
        .value_kind:     hidden_group_size_x
      - .offset:         38
        .size:           2
        .value_kind:     hidden_group_size_y
      - .offset:         40
        .size:           2
        .value_kind:     hidden_group_size_z
      - .offset:         42
        .size:           2
        .value_kind:     hidden_remainder_x
      - .offset:         44
        .size:           2
        .value_kind:     hidden_remainder_y
      - .offset:         46
        .size:           2
        .value_kind:     hidden_remainder_z
      - .offset:         64
        .size:           8
        .value_kind:     hidden_global_offset_x
      - .offset:         72
        .size:           8
        .value_kind:     hidden_global_offset_y
      - .offset:         80
        .size:           8
        .value_kind:     hidden_global_offset_z
      - .offset:         88
        .size:           2
        .value_kind:     hidden_grid_dims
    .group_segment_fixed_size: 33280
    .kernarg_segment_align: 8
    .kernarg_segment_size: 280
    .language:       OpenCL C
    .language_version:
      - 2
      - 0
    .max_flat_workgroup_size: 1024
    .name:           _Z23transposeNoBankConflictiPdS_
    .private_segment_fixed_size: 0
    .sgpr_count:     14
    .sgpr_spill_count: 0
    .symbol:         _Z23transposeNoBankConflictiPdS_.kd
    .uniform_work_group_size: 1
    .uses_dynamic_stack: false
    .vgpr_count:     26
    .vgpr_spill_count: 0
    .wavefront_size: 64
  - .args:
      - .offset:         0
        .size:           4
        .value_kind:     by_value
      - .address_space:  global
        .offset:         8
        .size:           8
        .value_kind:     global_buffer
      - .address_space:  global
        .offset:         16
        .size:           8
        .value_kind:     global_buffer
      - .offset:         24
        .size:           4
        .value_kind:     hidden_block_count_x
      - .offset:         28
        .size:           4
        .value_kind:     hidden_block_count_y
      - .offset:         32
        .size:           4
        .value_kind:     hidden_block_count_z
      - .offset:         36
        .size:           2
        .value_kind:     hidden_group_size_x
      - .offset:         38
        .size:           2
        .value_kind:     hidden_group_size_y
      - .offset:         40
        .size:           2
        .value_kind:     hidden_group_size_z
      - .offset:         42
        .size:           2
        .value_kind:     hidden_remainder_x
      - .offset:         44
        .size:           2
        .value_kind:     hidden_remainder_y
      - .offset:         46
        .size:           2
        .value_kind:     hidden_remainder_z
      - .offset:         64
        .size:           8
        .value_kind:     hidden_global_offset_x
      - .offset:         72
        .size:           8
        .value_kind:     hidden_global_offset_y
      - .offset:         80
        .size:           8
        .value_kind:     hidden_global_offset_z
      - .offset:         88
        .size:           2
        .value_kind:     hidden_grid_dims
    .group_segment_fixed_size: 32768
    .kernarg_segment_align: 8
    .kernarg_segment_size: 280
    .language:       OpenCL C
    .language_version:
      - 2
      - 0
    .max_flat_workgroup_size: 1024
    .name:           _Z18transposeCoalescediPdS_
    .private_segment_fixed_size: 0
    .sgpr_count:     14
    .sgpr_spill_count: 0
    .symbol:         _Z18transposeCoalescediPdS_.kd
    .uniform_work_group_size: 1
    .uses_dynamic_stack: false
    .vgpr_count:     27
    .vgpr_spill_count: 0
    .wavefront_size: 64
  - .args:
      - .offset:         0
        .size:           4
        .value_kind:     by_value
      - .address_space:  global
        .offset:         8
        .size:           8
        .value_kind:     global_buffer
      - .address_space:  global
        .offset:         16
        .size:           8
        .value_kind:     global_buffer
      - .offset:         24
        .size:           4
        .value_kind:     hidden_block_count_x
      - .offset:         28
        .size:           4
        .value_kind:     hidden_block_count_y
      - .offset:         32
        .size:           4
        .value_kind:     hidden_block_count_z
      - .offset:         36
        .size:           2
        .value_kind:     hidden_group_size_x
      - .offset:         38
        .size:           2
        .value_kind:     hidden_group_size_y
      - .offset:         40
        .size:           2
        .value_kind:     hidden_group_size_z
      - .offset:         42
        .size:           2
        .value_kind:     hidden_remainder_x
      - .offset:         44
        .size:           2
        .value_kind:     hidden_remainder_y
      - .offset:         46
        .size:           2
        .value_kind:     hidden_remainder_z
      - .offset:         64
        .size:           8
        .value_kind:     hidden_global_offset_x
      - .offset:         72
        .size:           8
        .value_kind:     hidden_global_offset_y
      - .offset:         80
        .size:           8
        .value_kind:     hidden_global_offset_z
      - .offset:         88
        .size:           2
        .value_kind:     hidden_grid_dims
    .group_segment_fixed_size: 0
    .kernarg_segment_align: 8
    .kernarg_segment_size: 280
    .language:       OpenCL C
    .language_version:
      - 2
      - 0
    .max_flat_workgroup_size: 1024
    .name:           _Z14transposeNaiveiPdS_
    .private_segment_fixed_size: 0
    .sgpr_count:     13
    .sgpr_spill_count: 0
    .symbol:         _Z14transposeNaiveiPdS_.kd
    .uniform_work_group_size: 1
    .uses_dynamic_stack: false
    .vgpr_count:     13
    .vgpr_spill_count: 0
    .wavefront_size: 64
amdhsa.target:   amdgcn-amd-amdhsa--gfx906
amdhsa.version:
  - 1
  - 2
...

	.end_amdgpu_metadata
